;; amdgpu-corpus repo=ROCm/rocFFT kind=compiled arch=gfx950 opt=O3
	.text
	.amdgcn_target "amdgcn-amd-amdhsa--gfx950"
	.amdhsa_code_object_version 6
	.protected	fft_rtc_back_len90_factors_3_3_10_wgs_63_tpt_9_halfLds_half_ip_CI_sbrr_dirReg ; -- Begin function fft_rtc_back_len90_factors_3_3_10_wgs_63_tpt_9_halfLds_half_ip_CI_sbrr_dirReg
	.globl	fft_rtc_back_len90_factors_3_3_10_wgs_63_tpt_9_halfLds_half_ip_CI_sbrr_dirReg
	.p2align	8
	.type	fft_rtc_back_len90_factors_3_3_10_wgs_63_tpt_9_halfLds_half_ip_CI_sbrr_dirReg,@function
fft_rtc_back_len90_factors_3_3_10_wgs_63_tpt_9_halfLds_half_ip_CI_sbrr_dirReg: ; @fft_rtc_back_len90_factors_3_3_10_wgs_63_tpt_9_halfLds_half_ip_CI_sbrr_dirReg
; %bb.0:
	s_load_dwordx2 s[12:13], s[0:1], 0x18
	s_load_dwordx4 s[4:7], s[0:1], 0x0
	s_load_dwordx2 s[10:11], s[0:1], 0x50
	v_mul_u32_u24_e32 v1, 0x1c72, v0
	v_lshrrev_b32_e32 v2, 16, v1
	s_waitcnt lgkmcnt(0)
	s_load_dwordx2 s[8:9], s[12:13], 0x0
	v_mad_u64_u32 v[2:3], s[2:3], s2, 7, v[2:3]
	v_mov_b32_e32 v6, 0
	v_mov_b32_e32 v3, v6
	v_cmp_lt_u64_e64 s[2:3], s[6:7], 2
	s_and_b64 vcc, exec, s[2:3]
	v_mov_b64_e32 v[4:5], 0
	v_mov_b64_e32 v[10:11], v[2:3]
	s_cbranch_vccnz .LBB0_8
; %bb.1:
	s_load_dwordx2 s[2:3], s[0:1], 0x10
	s_add_u32 s14, s12, 8
	s_addc_u32 s15, s13, 0
	s_mov_b64 s[16:17], 1
	v_mov_b64_e32 v[4:5], 0
	s_waitcnt lgkmcnt(0)
	s_add_u32 s18, s2, 8
	s_addc_u32 s19, s3, 0
	v_mov_b64_e32 v[8:9], v[2:3]
.LBB0_2:                                ; =>This Inner Loop Header: Depth=1
	s_load_dwordx2 s[20:21], s[18:19], 0x0
                                        ; implicit-def: $vgpr10_vgpr11
	s_waitcnt lgkmcnt(0)
	v_or_b32_e32 v7, s21, v9
	v_cmp_ne_u64_e32 vcc, 0, v[6:7]
	s_and_saveexec_b64 s[2:3], vcc
	s_xor_b64 s[22:23], exec, s[2:3]
	s_cbranch_execz .LBB0_4
; %bb.3:                                ;   in Loop: Header=BB0_2 Depth=1
	v_cvt_f32_u32_e32 v1, s20
	v_cvt_f32_u32_e32 v3, s21
	s_sub_u32 s2, 0, s20
	s_subb_u32 s3, 0, s21
	v_fmac_f32_e32 v1, 0x4f800000, v3
	v_rcp_f32_e32 v1, v1
	s_nop 0
	v_mul_f32_e32 v1, 0x5f7ffffc, v1
	v_mul_f32_e32 v3, 0x2f800000, v1
	v_trunc_f32_e32 v3, v3
	v_fmac_f32_e32 v1, 0xcf800000, v3
	v_cvt_u32_f32_e32 v3, v3
	v_cvt_u32_f32_e32 v1, v1
	v_mul_lo_u32 v7, s2, v3
	v_mul_hi_u32 v10, s2, v1
	v_mul_lo_u32 v11, s3, v1
	v_add_u32_e32 v7, v10, v7
	v_mul_lo_u32 v14, s2, v1
	v_add_u32_e32 v7, v7, v11
	v_mul_hi_u32 v10, v1, v14
	v_mul_hi_u32 v13, v1, v7
	v_mul_lo_u32 v12, v1, v7
	v_mov_b32_e32 v11, v6
	v_lshl_add_u64 v[10:11], v[10:11], 0, v[12:13]
	v_mul_hi_u32 v13, v3, v14
	v_mul_lo_u32 v14, v3, v14
	v_add_co_u32_e32 v10, vcc, v10, v14
	v_mul_hi_u32 v12, v3, v7
	s_nop 0
	v_addc_co_u32_e32 v10, vcc, v11, v13, vcc
	v_mov_b32_e32 v11, v6
	s_nop 0
	v_addc_co_u32_e32 v13, vcc, 0, v12, vcc
	v_mul_lo_u32 v12, v3, v7
	v_lshl_add_u64 v[10:11], v[10:11], 0, v[12:13]
	v_add_co_u32_e32 v1, vcc, v1, v10
	v_mul_hi_u32 v10, s2, v1
	s_nop 0
	v_addc_co_u32_e32 v3, vcc, v3, v11, vcc
	v_mul_lo_u32 v7, s2, v3
	v_add_u32_e32 v7, v10, v7
	v_mul_lo_u32 v10, s3, v1
	v_add_u32_e32 v7, v7, v10
	v_mul_lo_u32 v12, s2, v1
	v_mul_hi_u32 v15, v3, v12
	v_mul_lo_u32 v16, v3, v12
	v_mul_hi_u32 v11, v1, v7
	;; [unrolled: 2-line block ×3, first 2 shown]
	v_mov_b32_e32 v13, v6
	v_lshl_add_u64 v[10:11], v[12:13], 0, v[10:11]
	v_add_co_u32_e32 v10, vcc, v10, v16
	v_mul_hi_u32 v14, v3, v7
	s_nop 0
	v_addc_co_u32_e32 v10, vcc, v11, v15, vcc
	v_mul_lo_u32 v12, v3, v7
	s_nop 0
	v_addc_co_u32_e32 v13, vcc, 0, v14, vcc
	v_mov_b32_e32 v11, v6
	v_lshl_add_u64 v[10:11], v[10:11], 0, v[12:13]
	v_add_co_u32_e32 v1, vcc, v1, v10
	v_mul_hi_u32 v12, v8, v1
	s_nop 0
	v_addc_co_u32_e32 v3, vcc, v3, v11, vcc
	v_mad_u64_u32 v[10:11], s[2:3], v8, v3, 0
	v_mov_b32_e32 v13, v6
	v_lshl_add_u64 v[10:11], v[12:13], 0, v[10:11]
	v_mad_u64_u32 v[14:15], s[2:3], v9, v1, 0
	v_add_co_u32_e32 v1, vcc, v10, v14
	v_mad_u64_u32 v[12:13], s[2:3], v9, v3, 0
	s_nop 0
	v_addc_co_u32_e32 v10, vcc, v11, v15, vcc
	v_mov_b32_e32 v11, v6
	s_nop 0
	v_addc_co_u32_e32 v13, vcc, 0, v13, vcc
	v_lshl_add_u64 v[10:11], v[10:11], 0, v[12:13]
	v_mul_lo_u32 v1, s21, v10
	v_mul_lo_u32 v3, s20, v11
	v_mad_u64_u32 v[12:13], s[2:3], s20, v10, 0
	v_add3_u32 v1, v13, v3, v1
	v_sub_u32_e32 v3, v9, v1
	v_mov_b32_e32 v7, s21
	v_sub_co_u32_e32 v16, vcc, v8, v12
	v_lshl_add_u64 v[14:15], v[10:11], 0, 1
	s_nop 0
	v_subb_co_u32_e64 v3, s[2:3], v3, v7, vcc
	v_subrev_co_u32_e64 v7, s[2:3], s20, v16
	v_subb_co_u32_e32 v1, vcc, v9, v1, vcc
	s_nop 0
	v_subbrev_co_u32_e64 v3, s[2:3], 0, v3, s[2:3]
	v_cmp_le_u32_e64 s[2:3], s21, v3
	v_cmp_le_u32_e32 vcc, s21, v1
	s_nop 0
	v_cndmask_b32_e64 v12, 0, -1, s[2:3]
	v_cmp_le_u32_e64 s[2:3], s20, v7
	s_nop 1
	v_cndmask_b32_e64 v7, 0, -1, s[2:3]
	v_cmp_eq_u32_e64 s[2:3], s21, v3
	s_nop 1
	v_cndmask_b32_e64 v3, v12, v7, s[2:3]
	v_lshl_add_u64 v[12:13], v[10:11], 0, 2
	v_cmp_ne_u32_e64 s[2:3], 0, v3
	v_cndmask_b32_e64 v7, 0, -1, vcc
	v_cmp_le_u32_e32 vcc, s20, v16
	v_cndmask_b32_e64 v3, v15, v13, s[2:3]
	s_nop 0
	v_cndmask_b32_e64 v13, 0, -1, vcc
	v_cmp_eq_u32_e32 vcc, s21, v1
	s_nop 1
	v_cndmask_b32_e32 v1, v7, v13, vcc
	v_cmp_ne_u32_e32 vcc, 0, v1
	v_cndmask_b32_e64 v1, v14, v12, s[2:3]
	s_nop 0
	v_cndmask_b32_e32 v11, v11, v3, vcc
	v_cndmask_b32_e32 v10, v10, v1, vcc
.LBB0_4:                                ;   in Loop: Header=BB0_2 Depth=1
	s_andn2_saveexec_b64 s[2:3], s[22:23]
	s_cbranch_execz .LBB0_6
; %bb.5:                                ;   in Loop: Header=BB0_2 Depth=1
	v_cvt_f32_u32_e32 v1, s20
	s_sub_i32 s22, 0, s20
	v_mov_b32_e32 v11, v6
	v_rcp_iflag_f32_e32 v1, v1
	s_nop 0
	v_mul_f32_e32 v1, 0x4f7ffffe, v1
	v_cvt_u32_f32_e32 v1, v1
	v_mul_lo_u32 v3, s22, v1
	v_mul_hi_u32 v3, v1, v3
	v_add_u32_e32 v1, v1, v3
	v_mul_hi_u32 v1, v8, v1
	v_mul_lo_u32 v3, v1, s20
	v_sub_u32_e32 v3, v8, v3
	v_add_u32_e32 v7, 1, v1
	v_subrev_u32_e32 v10, s20, v3
	v_cmp_le_u32_e32 vcc, s20, v3
	s_nop 1
	v_cndmask_b32_e32 v3, v3, v10, vcc
	v_cndmask_b32_e32 v1, v1, v7, vcc
	v_add_u32_e32 v7, 1, v1
	v_cmp_le_u32_e32 vcc, s20, v3
	s_nop 1
	v_cndmask_b32_e32 v10, v1, v7, vcc
.LBB0_6:                                ;   in Loop: Header=BB0_2 Depth=1
	s_or_b64 exec, exec, s[2:3]
	v_mad_u64_u32 v[12:13], s[2:3], v10, s20, 0
	s_load_dwordx2 s[2:3], s[14:15], 0x0
	s_add_u32 s16, s16, 1
	v_mul_lo_u32 v1, v11, s20
	v_mul_lo_u32 v3, v10, s21
	s_addc_u32 s17, s17, 0
	v_add3_u32 v1, v13, v3, v1
	v_sub_co_u32_e32 v3, vcc, v8, v12
	s_add_u32 s14, s14, 8
	s_nop 0
	v_subb_co_u32_e32 v1, vcc, v9, v1, vcc
	s_addc_u32 s15, s15, 0
	v_mov_b64_e32 v[8:9], s[6:7]
	s_waitcnt lgkmcnt(0)
	v_mul_lo_u32 v1, s2, v1
	v_mul_lo_u32 v7, s3, v3
	v_mad_u64_u32 v[4:5], s[2:3], s2, v3, v[4:5]
	s_add_u32 s18, s18, 8
	v_cmp_ge_u64_e32 vcc, s[16:17], v[8:9]
	v_add3_u32 v5, v7, v5, v1
	s_addc_u32 s19, s19, 0
	s_cbranch_vccnz .LBB0_8
; %bb.7:                                ;   in Loop: Header=BB0_2 Depth=1
	v_mov_b64_e32 v[8:9], v[10:11]
	s_branch .LBB0_2
.LBB0_8:
	s_lshl_b64 s[2:3], s[6:7], 3
	s_add_u32 s2, s12, s2
	s_addc_u32 s3, s13, s3
	s_load_dwordx2 s[6:7], s[2:3], 0x0
	s_load_dwordx2 s[12:13], s[0:1], 0x20
	s_mov_b32 s2, 0x1c71c71d
	s_waitcnt lgkmcnt(0)
	v_mul_lo_u32 v1, s6, v11
	v_mul_lo_u32 v3, s7, v10
	v_mad_u64_u32 v[4:5], s[0:1], s6, v10, v[4:5]
	v_add3_u32 v5, v3, v5, v1
	v_mul_hi_u32 v1, v0, s2
	v_mul_u32_u24_e32 v1, 9, v1
	v_sub_u32_e32 v6, v0, v1
	v_cmp_gt_u64_e32 vcc, s[12:13], v[10:11]
	v_cmp_le_u64_e64 s[0:1], s[12:13], v[10:11]
	v_add_u32_e32 v8, 9, v6
	v_add_u32_e32 v7, 18, v6
                                        ; implicit-def: $sgpr6
	s_and_saveexec_b64 s[2:3], s[0:1]
	s_xor_b64 s[0:1], exec, s[2:3]
; %bb.9:
	v_add_u32_e32 v8, 9, v6
	v_add_u32_e32 v7, 18, v6
	s_mov_b32 s6, 0
; %bb.10:
	s_or_saveexec_b64 s[2:3], s[0:1]
	v_mov_b32_e32 v3, s6
	v_lshl_add_u64 v[0:1], v[4:5], 2, s[10:11]
                                        ; implicit-def: $vgpr24
                                        ; implicit-def: $vgpr21
                                        ; implicit-def: $vgpr23
                                        ; implicit-def: $vgpr20
                                        ; implicit-def: $vgpr22
                                        ; implicit-def: $vgpr11
                                        ; implicit-def: $vgpr35
                                        ; implicit-def: $vgpr15
                                        ; implicit-def: $vgpr36
                                        ; implicit-def: $vgpr12
                                        ; implicit-def: $vgpr34
                                        ; implicit-def: $vgpr4
                                        ; implicit-def: $vgpr38
                                        ; implicit-def: $vgpr13
                                        ; implicit-def: $vgpr39
                                        ; implicit-def: $vgpr14
                                        ; implicit-def: $vgpr37
                                        ; implicit-def: $vgpr5
                                        ; implicit-def: $vgpr41
                                        ; implicit-def: $vgpr18
                                        ; implicit-def: $vgpr42
                                        ; implicit-def: $vgpr19
                                        ; implicit-def: $vgpr40
                                        ; implicit-def: $vgpr9
	s_xor_b64 exec, exec, s[2:3]
	s_cbranch_execz .LBB0_14
; %bb.11:
	v_mad_u64_u32 v[4:5], s[0:1], s8, v6, 0
	v_mov_b32_e32 v10, v5
	v_mad_u64_u32 v[10:11], s[0:1], s9, v6, v[10:11]
	v_mov_b32_e32 v5, v10
	v_add_u32_e32 v3, 30, v6
	v_lshl_add_u64 v[10:11], v[4:5], 2, v[0:1]
	v_mad_u64_u32 v[4:5], s[0:1], s8, v3, 0
	v_mov_b32_e32 v12, v5
	v_mad_u64_u32 v[12:13], s[0:1], s9, v3, v[12:13]
	v_mov_b32_e32 v5, v12
	v_add_u32_e32 v3, 60, v6
	v_lshl_add_u64 v[16:17], v[4:5], 2, v[0:1]
	v_mad_u64_u32 v[4:5], s[0:1], s8, v3, 0
	v_mov_b32_e32 v12, v5
	v_mad_u64_u32 v[12:13], s[0:1], s9, v3, v[12:13]
	v_mov_b32_e32 v5, v12
	v_lshl_add_u64 v[20:21], v[4:5], 2, v[0:1]
	v_mad_u64_u32 v[4:5], s[0:1], s8, v8, 0
	v_mov_b32_e32 v12, v5
	v_mad_u64_u32 v[12:13], s[0:1], s9, v8, v[12:13]
	v_mov_b32_e32 v5, v12
	v_add_u32_e32 v3, 39, v6
	v_lshl_add_u64 v[22:23], v[4:5], 2, v[0:1]
	v_mad_u64_u32 v[4:5], s[0:1], s8, v3, 0
	v_mov_b32_e32 v12, v5
	v_mad_u64_u32 v[12:13], s[0:1], s9, v3, v[12:13]
	v_mov_b32_e32 v5, v12
	v_add_u32_e32 v3, 0x45, v6
	v_lshl_add_u64 v[24:25], v[4:5], 2, v[0:1]
	v_mad_u64_u32 v[4:5], s[0:1], s8, v3, 0
	v_mov_b32_e32 v12, v5
	v_mad_u64_u32 v[12:13], s[0:1], s9, v3, v[12:13]
	v_mov_b32_e32 v5, v12
	v_lshl_add_u64 v[26:27], v[4:5], 2, v[0:1]
	v_mad_u64_u32 v[4:5], s[0:1], s8, v7, 0
	v_mov_b32_e32 v12, v5
	v_mad_u64_u32 v[12:13], s[0:1], s9, v7, v[12:13]
	v_mov_b32_e32 v5, v12
	v_or_b32_e32 v3, 48, v6
	v_lshl_add_u64 v[28:29], v[4:5], 2, v[0:1]
	v_mad_u64_u32 v[4:5], s[0:1], s8, v3, 0
	v_mov_b32_e32 v12, v5
	v_mad_u64_u32 v[12:13], s[0:1], s9, v3, v[12:13]
	v_mov_b32_e32 v5, v12
	v_lshl_add_u64 v[30:31], v[4:5], 2, v[0:1]
	global_load_dword v9, v[10:11], off
	global_load_dword v19, v[16:17], off
	;; [unrolled: 1-line block ×8, first 2 shown]
	v_add_u32_e32 v3, 0x4e, v6
	v_mad_u64_u32 v[10:11], s[0:1], s8, v3, 0
	v_mov_b32_e32 v16, v11
	v_mad_u64_u32 v[16:17], s[0:1], s9, v3, v[16:17]
	v_mov_b32_e32 v11, v16
	v_lshl_add_u64 v[10:11], v[10:11], 2, v[0:1]
	global_load_dword v15, v[10:11], off
	v_cmp_gt_u32_e64 s[0:1], 3, v6
                                        ; implicit-def: $vgpr11
                                        ; implicit-def: $vgpr22
                                        ; implicit-def: $vgpr20
                                        ; implicit-def: $vgpr23
                                        ; implicit-def: $vgpr21
                                        ; implicit-def: $vgpr24
	s_and_saveexec_b64 s[6:7], s[0:1]
	s_cbranch_execz .LBB0_13
; %bb.12:
	v_add_u32_e32 v3, 27, v6
	v_mad_u64_u32 v[10:11], s[0:1], s8, v3, 0
	v_mov_b32_e32 v16, v11
	v_mad_u64_u32 v[16:17], s[0:1], s9, v3, v[16:17]
	v_mov_b32_e32 v11, v16
	v_add_u32_e32 v3, 57, v6
	v_lshl_add_u64 v[16:17], v[10:11], 2, v[0:1]
	v_mad_u64_u32 v[10:11], s[0:1], s8, v3, 0
	v_mov_b32_e32 v20, v11
	v_mad_u64_u32 v[20:21], s[0:1], s9, v3, v[20:21]
	v_mov_b32_e32 v11, v20
	v_add_u32_e32 v3, 0x57, v6
	v_lshl_add_u64 v[22:23], v[10:11], 2, v[0:1]
	v_mad_u64_u32 v[10:11], s[0:1], s8, v3, 0
	v_mov_b32_e32 v20, v11
	v_mad_u64_u32 v[20:21], s[0:1], s9, v3, v[20:21]
	v_mov_b32_e32 v11, v20
	v_lshl_add_u64 v[24:25], v[10:11], 2, v[0:1]
	global_load_dword v11, v[16:17], off
	global_load_dword v20, v[22:23], off
	;; [unrolled: 1-line block ×3, first 2 shown]
	s_waitcnt vmcnt(2)
	v_lshrrev_b32_e32 v22, 16, v11
	s_waitcnt vmcnt(1)
	v_lshrrev_b32_e32 v23, 16, v20
	;; [unrolled: 2-line block ×3, first 2 shown]
.LBB0_13:
	s_or_b64 exec, exec, s[6:7]
	s_waitcnt vmcnt(8)
	v_lshrrev_b32_e32 v40, 16, v9
	s_waitcnt vmcnt(7)
	v_lshrrev_b32_e32 v42, 16, v19
	;; [unrolled: 2-line block ×9, first 2 shown]
	v_mov_b32_e32 v3, v6
.LBB0_14:
	s_or_b64 exec, exec, s[2:3]
	s_mov_b32 s0, 0x24924925
	v_mul_hi_u32 v10, v2, s0
	v_sub_u32_e32 v16, v2, v10
	v_lshrrev_b32_e32 v16, 1, v16
	v_add_u32_e32 v10, v16, v10
	v_lshrrev_b32_e32 v10, 2, v10
	v_mul_lo_u32 v10, v10, 7
	v_sub_u32_e32 v2, v2, v10
	v_add_f16_e32 v10, v19, v9
	v_add_f16_e32 v25, v18, v10
	;; [unrolled: 1-line block ×3, first 2 shown]
	v_fma_f16 v9, v10, -0.5, v9
	v_sub_f16_e32 v10, v42, v41
	s_mov_b32 s0, 0xbaee
	s_movk_i32 s1, 0x3aee
	v_fma_f16 v27, v10, s0, v9
	v_fma_f16 v28, v10, s1, v9
	v_add_f16_e32 v9, v14, v5
	v_add_f16_e32 v29, v13, v9
	;; [unrolled: 1-line block ×3, first 2 shown]
	v_fma_f16 v5, v9, -0.5, v5
	v_sub_f16_e32 v9, v39, v38
	v_fma_f16 v30, v9, s0, v5
	v_fma_f16 v5, v9, s1, v5
	v_add_f16_e32 v9, v12, v4
	v_add_f16_e32 v31, v15, v9
	;; [unrolled: 1-line block ×3, first 2 shown]
	v_fma_f16 v4, v9, -0.5, v4
	v_sub_f16_e32 v9, v36, v35
	v_fma_f16 v32, v9, s0, v4
	v_fma_f16 v4, v9, s1, v4
	v_add_f16_e32 v9, v20, v11
	v_add_f16_e32 v10, v21, v9
	;; [unrolled: 1-line block ×3, first 2 shown]
	v_mul_u32_u24_e32 v2, 0x5a, v2
	v_fma_f16 v9, v9, -0.5, v11
	v_sub_f16_e32 v11, v23, v24
	v_fma_f16 v17, v11, s0, v9
	v_fma_f16 v16, v11, s1, v9
	v_mad_u32_u24 v26, v6, 6, 0
	v_lshlrev_b32_e32 v9, 1, v2
	v_add_u32_e32 v44, v26, v9
	ds_write_b16 v44, v25
	ds_write_b16 v44, v27 offset:2
	ds_write_b16 v44, v28 offset:4
	v_mad_i32_i24 v25, v8, 6, 0
	v_add_u32_e32 v45, v25, v9
	ds_write_b16 v45, v29
	ds_write_b16 v45, v30 offset:2
	ds_write_b16 v45, v5 offset:4
	v_mad_i32_i24 v5, v7, 6, 0
	v_add_u32_e32 v46, v5, v9
	v_cmp_gt_u32_e64 s[0:1], 3, v6
	ds_write_b16 v46, v31
	ds_write_b16 v46, v32 offset:2
	ds_write_b16 v46, v4 offset:4
	s_and_saveexec_b64 s[2:3], s[0:1]
	s_cbranch_execz .LBB0_16
; %bb.15:
	v_lshl_add_u32 v2, v2, 1, v26
	ds_write_b16 v2, v10 offset:162
	ds_write_b16 v2, v17 offset:164
	;; [unrolled: 1-line block ×3, first 2 shown]
.LBB0_16:
	s_or_b64 exec, exec, s[2:3]
	v_lshlrev_b32_e32 v2, 2, v6
	v_lshlrev_b32_e32 v11, 1, v6
	v_sub_u32_e32 v2, v26, v2
	v_add3_u32 v4, 0, v9, v11
	v_add_u32_e32 v43, v2, v9
	v_lshlrev_b32_e32 v2, 2, v8
	s_waitcnt lgkmcnt(0)
	; wave barrier
	s_waitcnt lgkmcnt(0)
	v_sub_u32_e32 v2, v25, v2
	ds_read_u16 v25, v4
	ds_read_u16 v31, v43 offset:60
	ds_read_u16 v29, v43 offset:78
	;; [unrolled: 1-line block ×5, first 2 shown]
	v_lshlrev_b32_e32 v26, 2, v7
	v_sub_u32_e32 v5, v5, v26
	v_add_u32_e32 v5, v5, v9
	v_add_u32_e32 v2, v2, v9
	ds_read_u16 v26, v5
	ds_read_u16 v27, v2
	ds_read_u16 v33, v43 offset:156
	s_and_saveexec_b64 s[2:3], s[0:1]
	s_cbranch_execz .LBB0_18
; %bb.17:
	ds_read_u16 v10, v43 offset:54
	ds_read_u16 v17, v43 offset:114
	;; [unrolled: 1-line block ×3, first 2 shown]
.LBB0_18:
	s_or_b64 exec, exec, s[2:3]
	v_add_f16_e32 v47, v42, v40
	v_add_f16_e32 v47, v41, v47
	;; [unrolled: 1-line block ×3, first 2 shown]
	v_fma_f16 v40, v41, -0.5, v40
	v_sub_f16_e32 v18, v19, v18
	s_movk_i32 s2, 0x3aee
	s_mov_b32 s3, 0xbaee
	v_fma_f16 v41, v18, s2, v40
	v_fma_f16 v40, v18, s3, v40
	v_add_f16_e32 v18, v39, v37
	v_add_f16_e32 v42, v38, v18
	;; [unrolled: 1-line block ×3, first 2 shown]
	v_fma_f16 v18, v18, -0.5, v37
	v_sub_f16_e32 v13, v14, v13
	v_fma_f16 v14, v13, s2, v18
	v_fma_f16 v13, v13, s3, v18
	v_add_f16_e32 v18, v36, v34
	v_add_f16_e32 v37, v35, v18
	v_add_f16_e32 v18, v35, v36
	v_fma_f16 v18, v18, -0.5, v34
	v_sub_f16_e32 v12, v12, v15
	v_fma_f16 v15, v12, s2, v18
	v_fma_f16 v34, v12, s3, v18
	v_add_f16_e32 v18, v24, v23
	v_add_f16_e32 v12, v23, v22
	v_fma_f16 v18, v18, -0.5, v22
	v_sub_f16_e32 v20, v20, v21
	v_add_f16_e32 v12, v24, v12
	v_fma_f16 v19, v20, s2, v18
	v_fma_f16 v18, v20, s3, v18
	v_add_u32_e32 v35, 27, v6
	s_waitcnt lgkmcnt(0)
	; wave barrier
	s_waitcnt lgkmcnt(0)
	ds_write_b16 v44, v47
	ds_write_b16 v44, v41 offset:2
	ds_write_b16 v44, v40 offset:4
	ds_write_b16 v45, v42
	ds_write_b16 v45, v14 offset:2
	ds_write_b16 v45, v13 offset:4
	;; [unrolled: 3-line block ×3, first 2 shown]
	s_and_saveexec_b64 s[2:3], s[0:1]
	s_cbranch_execz .LBB0_20
; %bb.19:
	v_mul_u32_u24_e32 v13, 6, v35
	v_add3_u32 v13, 0, v13, v9
	ds_write_b16 v13, v12
	ds_write_b16 v13, v19 offset:2
	ds_write_b16 v13, v18 offset:4
.LBB0_20:
	s_or_b64 exec, exec, s[2:3]
	s_waitcnt lgkmcnt(0)
	; wave barrier
	s_waitcnt lgkmcnt(0)
	ds_read_u16 v14, v4
	ds_read_u16 v24, v43 offset:60
	ds_read_u16 v21, v43 offset:78
	;; [unrolled: 1-line block ×5, first 2 shown]
	ds_read_u16 v13, v5
	ds_read_u16 v15, v2
	ds_read_u16 v22, v43 offset:156
	s_and_saveexec_b64 s[2:3], s[0:1]
	s_cbranch_execz .LBB0_22
; %bb.21:
	ds_read_u16 v12, v43 offset:54
	ds_read_u16 v19, v43 offset:114
	;; [unrolled: 1-line block ×3, first 2 shown]
.LBB0_22:
	s_or_b64 exec, exec, s[2:3]
	s_movk_i32 s2, 0xab
	v_mul_lo_u16_sdwa v36, v6, s2 dst_sel:DWORD dst_unused:UNUSED_PAD src0_sel:BYTE_0 src1_sel:DWORD
	v_mul_lo_u16_sdwa v40, v8, s2 dst_sel:DWORD dst_unused:UNUSED_PAD src0_sel:BYTE_0 src1_sel:DWORD
	v_lshrrev_b16_e32 v36, 9, v36
	v_lshrrev_b16_e32 v48, 9, v40
	v_mul_lo_u16_e32 v37, 3, v36
	v_mul_lo_u16_e32 v40, 3, v48
	v_sub_u16_e32 v37, v6, v37
	v_mov_b32_e32 v38, 3
	v_sub_u16_e32 v49, v8, v40
	v_mul_lo_u16_sdwa v42, v7, s2 dst_sel:DWORD dst_unused:UNUSED_PAD src0_sel:BYTE_0 src1_sel:DWORD
	v_lshlrev_b32_sdwa v39, v38, v37 dst_sel:DWORD dst_unused:UNUSED_PAD src0_sel:DWORD src1_sel:BYTE_0
	v_lshlrev_b32_sdwa v8, v38, v49 dst_sel:DWORD dst_unused:UNUSED_PAD src0_sel:DWORD src1_sel:BYTE_0
	v_lshrrev_b16_e32 v50, 9, v42
	global_load_dwordx2 v[40:41], v39, s[4:5]
	global_load_dwordx2 v[42:43], v8, s[4:5]
	v_mul_lo_u16_e32 v39, 3, v50
	v_sub_u16_e32 v39, v7, v39
	v_lshlrev_b32_sdwa v7, v38, v39 dst_sel:DWORD dst_unused:UNUSED_PAD src0_sel:DWORD src1_sel:BYTE_0
	global_load_dwordx2 v[44:45], v7, s[4:5]
	v_mul_lo_u16_sdwa v8, v35, s2 dst_sel:DWORD dst_unused:UNUSED_PAD src0_sel:BYTE_0 src1_sel:DWORD
	v_lshrrev_b16_e32 v8, 9, v8
	v_mul_lo_u16_e32 v7, 3, v8
	v_sub_u16_e32 v8, v35, v7
	v_lshlrev_b32_sdwa v7, v38, v8 dst_sel:DWORD dst_unused:UNUSED_PAD src0_sel:DWORD src1_sel:BYTE_0
	global_load_dwordx2 v[46:47], v7, s[4:5]
	v_mov_b32_e32 v7, 1
	v_mad_u32_u24 v35, v36, 18, 0
	v_lshlrev_b32_sdwa v36, v7, v37 dst_sel:DWORD dst_unused:UNUSED_PAD src0_sel:DWORD src1_sel:BYTE_0
	v_add3_u32 v35, v35, v36, v9
	v_lshlrev_b32_sdwa v51, v7, v39 dst_sel:DWORD dst_unused:UNUSED_PAD src0_sel:DWORD src1_sel:BYTE_0
	s_mov_b32 s6, 0xbaee
	s_movk_i32 s7, 0x3aee
	v_lshlrev_b32_sdwa v49, v7, v49 dst_sel:DWORD dst_unused:UNUSED_PAD src0_sel:DWORD src1_sel:BYTE_0
	s_waitcnt lgkmcnt(0)
	; wave barrier
	s_waitcnt vmcnt(3) lgkmcnt(0)
	v_mul_f16_sdwa v36, v24, v40 dst_sel:DWORD dst_unused:UNUSED_PAD src0_sel:DWORD src1_sel:WORD_1
	v_mul_f16_sdwa v37, v31, v40 dst_sel:DWORD dst_unused:UNUSED_PAD src0_sel:DWORD src1_sel:WORD_1
	v_mul_f16_sdwa v38, v34, v41 dst_sel:DWORD dst_unused:UNUSED_PAD src0_sel:DWORD src1_sel:WORD_1
	v_mul_f16_sdwa v52, v32, v41 dst_sel:DWORD dst_unused:UNUSED_PAD src0_sel:DWORD src1_sel:WORD_1
	s_waitcnt vmcnt(2)
	v_mul_f16_sdwa v53, v21, v42 dst_sel:DWORD dst_unused:UNUSED_PAD src0_sel:DWORD src1_sel:WORD_1
	v_mul_f16_sdwa v54, v29, v42 dst_sel:DWORD dst_unused:UNUSED_PAD src0_sel:DWORD src1_sel:WORD_1
	;; [unrolled: 1-line block ×3, first 2 shown]
	s_waitcnt vmcnt(1)
	v_mul_f16_sdwa v60, v33, v45 dst_sel:DWORD dst_unused:UNUSED_PAD src0_sel:DWORD src1_sel:WORD_1
	v_fma_f16 v36, v31, v40, v36
	v_fma_f16 v39, v24, v40, -v37
	v_fma_f16 v37, v32, v41, v38
	s_waitcnt vmcnt(0)
	v_mul_f16_sdwa v61, v19, v46 dst_sel:DWORD dst_unused:UNUSED_PAD src0_sel:DWORD src1_sel:WORD_1
	v_mul_f16_sdwa v63, v18, v47 dst_sel:DWORD dst_unused:UNUSED_PAD src0_sel:DWORD src1_sel:WORD_1
	;; [unrolled: 1-line block ×8, first 2 shown]
	v_fma_f16 v40, v34, v41, -v52
	v_fma_f16 v29, v29, v42, v53
	v_fma_f16 v34, v21, v42, -v54
	v_fma_f16 v31, v30, v43, v55
	;; [unrolled: 2-line block ×3, first 2 shown]
	v_fma_f16 v22, v16, v47, v63
	v_add_f16_e32 v16, v25, v36
	v_add_f16_e32 v17, v36, v37
	v_fma_f16 v38, v23, v43, -v56
	v_fma_f16 v28, v28, v44, v57
	v_fma_f16 v30, v20, v44, -v58
	v_fma_f16 v20, v33, v45, v59
	v_fma_f16 v24, v18, v47, -v64
	v_sub_f16_e32 v18, v39, v40
	v_add_f16_e32 v33, v29, v31
	v_add_f16_e32 v16, v16, v37
	v_fma_f16 v17, v17, -0.5, v25
	v_sub_f16_e32 v41, v34, v38
	v_add_f16_e32 v43, v28, v20
	v_fma_f16 v25, v33, -0.5, v27
	v_fma_f16 v33, v18, s6, v17
	v_fma_f16 v17, v18, s7, v17
	ds_write_b16 v35, v16
	ds_write_b16 v35, v33 offset:6
	ds_write_b16 v35, v17 offset:12
	v_mad_u32_u24 v16, v48, 18, 0
	v_fma_f16 v23, v19, v46, -v62
	v_add_f16_e32 v19, v27, v29
	v_add_f16_e32 v42, v26, v28
	v_sub_f16_e32 v44, v30, v32
	v_fma_f16 v26, v43, -0.5, v26
	v_fma_f16 v18, v41, s6, v25
	v_fma_f16 v41, v41, s7, v25
	v_add3_u32 v25, v16, v49, v9
	v_mad_u32_u24 v16, v50, 18, 0
	v_add_f16_e32 v19, v19, v31
	v_add_f16_e32 v27, v42, v20
	v_fma_f16 v42, v44, s6, v26
	v_fma_f16 v43, v44, s7, v26
	v_add3_u32 v26, v16, v51, v9
	ds_write_b16 v25, v19
	ds_write_b16 v25, v18 offset:6
	ds_write_b16 v25, v41 offset:12
	ds_write_b16 v26, v27
	ds_write_b16 v26, v42 offset:6
	ds_write_b16 v26, v43 offset:12
	s_and_saveexec_b64 s[2:3], s[0:1]
	s_cbranch_execz .LBB0_24
; %bb.23:
	v_add_f16_e32 v16, v21, v22
	v_lshlrev_b32_sdwa v7, v7, v8 dst_sel:DWORD dst_unused:UNUSED_PAD src0_sel:DWORD src1_sel:BYTE_0
	v_fma_f16 v16, v16, -0.5, v10
	v_add_f16_e32 v10, v10, v21
	v_add3_u32 v7, 0, v7, v9
	v_sub_f16_e32 v17, v23, v24
	v_add_f16_e32 v10, v10, v22
	v_fma_f16 v18, v17, s7, v16
	v_fma_f16 v16, v17, s6, v16
	ds_write_b16 v7, v10 offset:162
	ds_write_b16 v7, v16 offset:168
	;; [unrolled: 1-line block ×3, first 2 shown]
.LBB0_24:
	s_or_b64 exec, exec, s[2:3]
	v_add_f16_e32 v7, v14, v39
	v_add_f16_e32 v27, v7, v40
	v_add_f16_e32 v7, v39, v40
	v_fma_f16 v7, v7, -0.5, v14
	v_sub_f16_e32 v10, v36, v37
	v_fma_f16 v33, v10, s7, v7
	v_fma_f16 v36, v10, s6, v7
	v_add_f16_e32 v7, v15, v34
	v_add_f16_e32 v37, v7, v38
	v_add_f16_e32 v7, v34, v38
	v_fma_f16 v7, v7, -0.5, v15
	v_sub_f16_e32 v10, v29, v31
	v_fma_f16 v29, v10, s7, v7
	v_fma_f16 v31, v10, s6, v7
	;; [unrolled: 7-line block ×3, first 2 shown]
	s_waitcnt lgkmcnt(0)
	; wave barrier
	s_waitcnt lgkmcnt(0)
	v_add3_u32 v20, 0, v11, v9
	ds_read_u16 v7, v4
	ds_read_u16 v10, v2
	;; [unrolled: 1-line block ×3, first 2 shown]
	ds_read_u16 v11, v20 offset:54
	ds_read_u16 v17, v20 offset:72
	;; [unrolled: 1-line block ×7, first 2 shown]
	s_waitcnt lgkmcnt(0)
	; wave barrier
	s_waitcnt lgkmcnt(0)
	ds_write_b16 v35, v27
	ds_write_b16 v35, v33 offset:6
	ds_write_b16 v35, v36 offset:12
	ds_write_b16 v25, v37
	ds_write_b16 v25, v29 offset:6
	ds_write_b16 v25, v31 offset:12
	;; [unrolled: 3-line block ×3, first 2 shown]
	s_and_saveexec_b64 s[2:3], s[0:1]
	s_cbranch_execz .LBB0_26
; %bb.25:
	v_add_f16_e32 v25, v12, v23
	v_add_f16_e32 v23, v23, v24
	v_fma_f16 v12, v23, -0.5, v12
	v_sub_f16_e32 v21, v21, v22
	s_movk_i32 s0, 0x3aee
	v_fma_f16 v22, v21, s0, v12
	s_mov_b32 s0, 0xbaee
	v_fma_f16 v12, v21, s0, v12
	v_mov_b32_e32 v21, 1
	v_lshlrev_b32_sdwa v8, v21, v8 dst_sel:DWORD dst_unused:UNUSED_PAD src0_sel:DWORD src1_sel:BYTE_0
	v_add_f16_e32 v25, v25, v24
	v_add3_u32 v8, 0, v8, v9
	ds_write_b16 v8, v25 offset:162
	ds_write_b16 v8, v22 offset:168
	;; [unrolled: 1-line block ×3, first 2 shown]
.LBB0_26:
	s_or_b64 exec, exec, s[2:3]
	s_waitcnt lgkmcnt(0)
	; wave barrier
	s_waitcnt lgkmcnt(0)
	s_and_saveexec_b64 s[0:1], vcc
	s_cbranch_execz .LBB0_28
; %bb.27:
	v_mul_u32_u24_e32 v6, 9, v6
	v_lshlrev_b32_e32 v6, 2, v6
	global_load_dwordx4 v[22:25], v6, s[4:5] offset:24
	global_load_dwordx4 v[26:29], v6, s[4:5] offset:40
	global_load_dword v8, v6, s[4:5] offset:56
	ds_read_u16 v4, v4
	ds_read_u16 v6, v20 offset:144
	ds_read_u16 v9, v20 offset:162
	;; [unrolled: 1-line block ×7, first 2 shown]
	ds_read_u16 v5, v5
	ds_read_u16 v2, v2
	s_mov_b32 s0, 0xbb9c
	s_movk_i32 s3, 0x3b9c
	s_mov_b32 s1, 0xb8b4
	s_movk_i32 s4, 0x38b4
	s_movk_i32 s2, 0x34f2
	;; [unrolled: 1-line block ×3, first 2 shown]
	s_mov_b32 s5, 0xba79
	s_mov_b32 s6, 0xb4f2
	s_waitcnt vmcnt(2)
	v_mul_f16_sdwa v35, v17, v25 dst_sel:DWORD dst_unused:UNUSED_PAD src0_sel:DWORD src1_sel:WORD_1
	s_waitcnt vmcnt(1)
	v_lshrrev_b32_e32 v36, 16, v26
	v_lshrrev_b32_e32 v37, 16, v28
	v_mul_f16_sdwa v38, v19, v29 dst_sel:DWORD dst_unused:UNUSED_PAD src0_sel:DWORD src1_sel:WORD_1
	s_waitcnt lgkmcnt(8)
	v_mul_f16_sdwa v41, v6, v29 dst_sel:DWORD dst_unused:UNUSED_PAD src0_sel:DWORD src1_sel:WORD_1
	s_waitcnt lgkmcnt(5)
	v_mul_f16_sdwa v42, v21, v25 dst_sel:DWORD dst_unused:UNUSED_PAD src0_sel:DWORD src1_sel:WORD_1
	v_mul_f16_e32 v45, v13, v26
	v_mul_f16_e32 v48, v14, v28
	v_lshrrev_b32_e32 v32, 16, v22
	v_mul_f16_sdwa v34, v16, v23 dst_sel:DWORD dst_unused:UNUSED_PAD src0_sel:DWORD src1_sel:WORD_1
	v_mul_f16_sdwa v39, v18, v27 dst_sel:DWORD dst_unused:UNUSED_PAD src0_sel:DWORD src1_sel:WORD_1
	s_waitcnt lgkmcnt(1)
	v_mul_f16_sdwa v40, v5, v23 dst_sel:DWORD dst_unused:UNUSED_PAD src0_sel:DWORD src1_sel:WORD_1
	v_mul_f16_e32 v49, v10, v22
	v_fma_f16 v21, v21, v25, -v35
	v_fma_f16 v6, v6, v29, -v38
	v_fma_f16 v19, v19, v29, v41
	v_fma_f16 v17, v17, v25, v42
	;; [unrolled: 1-line block ×4, first 2 shown]
	v_mul_f16_sdwa v43, v31, v27 dst_sel:DWORD dst_unused:UNUSED_PAD src0_sel:DWORD src1_sel:WORD_1
	v_fma_f16 v5, v5, v23, -v34
	v_fma_f16 v31, v31, v27, -v39
	v_fma_f16 v16, v16, v23, v40
	s_waitcnt lgkmcnt(0)
	v_fma_f16 v34, v2, v32, v49
	v_mul_f16_e32 v10, v10, v32
	v_add_f16_e32 v40, v25, v29
	v_lshrrev_b32_e32 v33, 16, v24
	v_mul_f16_e32 v44, v11, v24
	s_waitcnt vmcnt(0)
	v_lshrrev_b32_e32 v46, 16, v8
	v_mul_f16_e32 v47, v15, v8
	v_fma_f16 v2, v2, v22, -v10
	v_fma_f16 v22, v40, -0.5, v34
	v_sub_f16_e32 v40, v21, v5
	v_sub_f16_e32 v41, v31, v6
	v_fma_f16 v18, v18, v27, v43
	v_fma_f16 v23, v12, v33, v44
	;; [unrolled: 1-line block ×3, first 2 shown]
	v_add_f16_e32 v40, v40, v41
	v_add_f16_e32 v41, v5, v6
	v_mul_f16_e32 v11, v11, v33
	v_mul_f16_e32 v15, v15, v46
	;; [unrolled: 1-line block ×4, first 2 shown]
	v_add_f16_e32 v35, v21, v31
	v_sub_f16_e32 v37, v17, v18
	v_fma_f16 v41, v41, -0.5, v4
	v_sub_f16_e32 v43, v25, v23
	v_sub_f16_e32 v44, v29, v27
	;; [unrolled: 1-line block ×5, first 2 shown]
	v_fma_f16 v11, v12, v24, -v11
	v_fma_f16 v8, v9, v8, -v15
	;; [unrolled: 1-line block ×4, first 2 shown]
	v_fma_f16 v15, v35, -0.5, v4
	v_fma_f16 v42, v37, s3, v41
	v_add_f16_e32 v43, v43, v44
	v_add_f16_e32 v44, v23, v27
	v_fma_f16 v41, v37, s0, v41
	v_add_f16_e32 v14, v32, v33
	v_sub_f16_e32 v26, v9, v12
	v_sub_f16_e32 v28, v11, v9
	;; [unrolled: 1-line block ×3, first 2 shown]
	v_add_f16_e32 v32, v9, v12
	v_fma_f16 v33, v36, s0, v15
	v_fma_f16 v42, v36, s1, v42
	v_fma_f16 v44, v44, -0.5, v34
	v_sub_f16_e32 v46, v9, v11
	v_sub_f16_e32 v47, v12, v8
	v_fma_f16 v41, v36, s4, v41
	v_fma_f16 v15, v36, s3, v15
	v_sub_f16_e32 v24, v11, v8
	v_add_f16_e32 v28, v28, v30
	v_fma_f16 v30, v32, -0.5, v2
	v_fma_f16 v32, v37, s1, v33
	v_fma_f16 v42, v40, s2, v42
	;; [unrolled: 1-line block ×3, first 2 shown]
	v_add_f16_e32 v46, v46, v47
	v_add_f16_e32 v47, v11, v8
	v_fma_f16 v40, v40, s2, v41
	v_fma_f16 v41, v26, s3, v44
	;; [unrolled: 1-line block ×3, first 2 shown]
	v_sub_f16_e32 v13, v25, v29
	v_fma_f16 v35, v24, s3, v22
	v_fma_f16 v32, v14, s2, v32
	;; [unrolled: 1-line block ×3, first 2 shown]
	v_fma_f16 v47, v47, -0.5, v2
	v_fma_f16 v41, v24, s1, v41
	v_fma_f16 v14, v14, s2, v15
	v_fma_f16 v15, v24, s0, v22
	v_sub_f16_e32 v10, v23, v27
	v_fma_f16 v33, v26, s4, v35
	v_fma_f16 v45, v43, s2, v45
	;; [unrolled: 1-line block ×6, first 2 shown]
	v_add_f16_e32 v2, v11, v2
	v_sub_f16_e32 v24, v17, v16
	v_sub_f16_e32 v26, v18, v19
	v_fma_f16 v35, v10, s0, v30
	v_fma_f16 v48, v10, s1, v48
	;; [unrolled: 1-line block ×4, first 2 shown]
	v_add_f16_e32 v4, v5, v4
	v_add_f16_e32 v2, v9, v2
	v_sub_f16_e32 v9, v16, v17
	v_sub_f16_e32 v11, v19, v18
	v_add_f16_e32 v24, v24, v26
	v_add_f16_e32 v26, v16, v19
	v_fma_f16 v35, v13, s1, v35
	v_fma_f16 v10, v13, s4, v10
	v_add_f16_e32 v4, v21, v4
	v_add_f16_e32 v2, v12, v2
	v_add_f16_e32 v9, v9, v11
	v_add_f16_e32 v11, v17, v18
	v_sub_f16_e32 v12, v21, v31
	v_fma_f16 v26, v26, -0.5, v7
	v_fma_f16 v35, v28, s2, v35
	v_fma_f16 v10, v28, s2, v10
	v_add_f16_e32 v4, v31, v4
	v_fma_f16 v11, v11, -0.5, v7
	v_sub_f16_e32 v5, v5, v6
	v_fma_f16 v28, v12, s0, v26
	v_fma_f16 v26, v12, s3, v26
	v_sub_f16_e32 v38, v23, v25
	v_sub_f16_e32 v39, v27, v29
	v_add_f16_e32 v4, v6, v4
	v_fma_f16 v6, v5, s3, v11
	v_fma_f16 v28, v5, s4, v28
	v_fma_f16 v26, v5, s1, v26
	v_fma_f16 v5, v5, s0, v11
	v_add_f16_e32 v20, v38, v39
	v_fma_f16 v6, v12, s4, v6
	v_fma_f16 v5, v12, s1, v5
	;; [unrolled: 1-line block ×3, first 2 shown]
	v_mul_f16_e32 v13, 0x3a79, v10
	v_fma_f16 v6, v9, s2, v6
	v_fma_f16 v5, v9, s2, v5
	v_mul_f16_e32 v9, 0xb8b4, v10
	v_add_f16_e32 v7, v7, v16
	v_add_f16_e32 v11, v23, v34
	v_fma_f16 v13, v15, s4, v13
	v_add_f16_e32 v2, v8, v2
	v_fma_f16 v9, v15, s7, v9
	v_add_f16_e32 v7, v7, v17
	v_add_f16_e32 v11, v25, v11
	v_fma_f16 v33, v20, s2, v33
	v_sub_f16_e32 v20, v14, v13
	v_sub_f16_e32 v8, v4, v2
	v_mul_f16_e32 v21, 0xb8b4, v35
	v_sub_f16_e32 v10, v5, v9
	v_add_f16_e32 v7, v7, v18
	v_add_f16_e32 v11, v29, v11
	;; [unrolled: 1-line block ×5, first 2 shown]
	v_mad_u64_u32 v[4:5], s[0:1], s8, v3, 0
	v_fma_f16 v21, v33, s5, v21
	v_add_f16_e32 v7, v19, v7
	v_add_f16_e32 v11, v27, v11
	v_mov_b32_e32 v2, v5
	v_sub_f16_e32 v22, v6, v21
	v_sub_f16_e32 v12, v7, v11
	v_add_f16_e32 v18, v6, v21
	v_add_f16_e32 v11, v7, v11
	v_mad_u64_u32 v[6:7], s[0:1], s9, v3, v[2:3]
	v_mov_b32_e32 v5, v6
	v_lshl_add_u64 v[4:5], v[4:5], 2, v[0:1]
	v_pack_b32_f16 v2, v11, v14
	v_add_u32_e32 v6, 9, v3
	global_store_dword v[4:5], v2, off
	v_mad_u64_u32 v[4:5], s[0:1], s8, v6, 0
	v_mov_b32_e32 v2, v5
	v_mad_u64_u32 v[6:7], s[0:1], s9, v6, v[2:3]
	v_mov_b32_e32 v5, v6
	v_lshl_add_u64 v[4:5], v[4:5], 2, v[0:1]
	v_pack_b32_f16 v2, v9, v13
	v_add_u32_e32 v6, 18, v3
	v_fma_f16 v43, v46, s2, v43
	global_store_dword v[4:5], v2, off
	v_mad_u64_u32 v[4:5], s[0:1], s8, v6, 0
	v_mul_f16_e32 v44, 0x34f2, v43
	v_fma_f16 v28, v24, s2, v28
	v_fma_f16 v24, v24, s2, v26
	v_mul_f16_e32 v26, 0xbb9c, v43
	v_mov_b32_e32 v2, v5
	v_fma_f16 v44, v41, s3, v44
	v_fma_f16 v26, v41, s2, v26
	v_mad_u64_u32 v[6:7], s[0:1], s9, v6, v[2:3]
	v_add_f16_e32 v17, v40, v44
	v_add_f16_e32 v21, v24, v26
	v_mov_b32_e32 v5, v6
	v_lshl_add_u64 v[4:5], v[4:5], 2, v[0:1]
	v_pack_b32_f16 v2, v21, v17
	v_add_u32_e32 v6, 27, v3
	v_fma_f16 v48, v46, s2, v48
	global_store_dword v[4:5], v2, off
	v_mad_u64_u32 v[4:5], s[0:1], s8, v6, 0
	v_mul_f16_e32 v49, 0xb4f2, v48
	v_mul_f16_e32 v30, 0xbb9c, v48
	v_mov_b32_e32 v2, v5
	v_fma_f16 v49, v45, s3, v49
	v_fma_f16 v30, v45, s6, v30
	v_mad_u64_u32 v[6:7], s[0:1], s9, v6, v[2:3]
	v_add_f16_e32 v16, v42, v49
	v_add_f16_e32 v19, v28, v30
	v_mov_b32_e32 v5, v6
	v_lshl_add_u64 v[4:5], v[4:5], 2, v[0:1]
	v_pack_b32_f16 v2, v19, v16
	v_add_u32_e32 v6, 36, v3
	global_store_dword v[4:5], v2, off
	v_mad_u64_u32 v[4:5], s[0:1], s8, v6, 0
	v_mul_f16_e32 v38, 0xba79, v35
	v_mov_b32_e32 v2, v5
	v_fma_f16 v38, v33, s4, v38
	v_mad_u64_u32 v[6:7], s[0:1], s9, v6, v[2:3]
	v_add_f16_e32 v15, v32, v38
	v_mov_b32_e32 v5, v6
	v_lshl_add_u64 v[4:5], v[4:5], 2, v[0:1]
	v_pack_b32_f16 v2, v18, v15
	v_add_u32_e32 v6, 45, v3
	global_store_dword v[4:5], v2, off
	v_mad_u64_u32 v[4:5], s[0:1], s8, v6, 0
	v_mov_b32_e32 v2, v5
	v_mad_u64_u32 v[6:7], s[0:1], s9, v6, v[2:3]
	v_mov_b32_e32 v5, v6
	v_lshl_add_u64 v[4:5], v[4:5], 2, v[0:1]
	v_pack_b32_f16 v2, v12, v8
	v_add_u32_e32 v6, 54, v3
	global_store_dword v[4:5], v2, off
	v_mad_u64_u32 v[4:5], s[0:1], s8, v6, 0
	v_mov_b32_e32 v2, v5
	v_mad_u64_u32 v[6:7], s[0:1], s9, v6, v[2:3]
	;; [unrolled: 8-line block ×3, first 2 shown]
	v_sub_f16_e32 v46, v40, v44
	v_sub_f16_e32 v33, v24, v26
	v_mov_b32_e32 v5, v6
	v_lshl_add_u64 v[4:5], v[4:5], 2, v[0:1]
	v_pack_b32_f16 v2, v33, v46
	v_add_u32_e32 v6, 0x48, v3
	global_store_dword v[4:5], v2, off
	v_mad_u64_u32 v[4:5], s[0:1], s8, v6, 0
	v_mov_b32_e32 v2, v5
	v_mad_u64_u32 v[6:7], s[0:1], s9, v6, v[2:3]
	v_sub_f16_e32 v50, v42, v49
	v_sub_f16_e32 v31, v28, v30
	v_mov_b32_e32 v5, v6
	v_lshl_add_u64 v[4:5], v[4:5], 2, v[0:1]
	v_pack_b32_f16 v2, v31, v50
	global_store_dword v[4:5], v2, off
	v_add_u32_e32 v5, 0x51, v3
	v_mad_u64_u32 v[2:3], s[0:1], s8, v5, 0
	v_mov_b32_e32 v4, v3
	v_mad_u64_u32 v[4:5], s[0:1], s9, v5, v[4:5]
	v_sub_f16_e32 v39, v32, v38
	v_mov_b32_e32 v3, v4
	v_lshl_add_u64 v[0:1], v[2:3], 2, v[0:1]
	v_pack_b32_f16 v2, v22, v39
	global_store_dword v[0:1], v2, off
.LBB0_28:
	s_endpgm
	.section	.rodata,"a",@progbits
	.p2align	6, 0x0
	.amdhsa_kernel fft_rtc_back_len90_factors_3_3_10_wgs_63_tpt_9_halfLds_half_ip_CI_sbrr_dirReg
		.amdhsa_group_segment_fixed_size 0
		.amdhsa_private_segment_fixed_size 0
		.amdhsa_kernarg_size 88
		.amdhsa_user_sgpr_count 2
		.amdhsa_user_sgpr_dispatch_ptr 0
		.amdhsa_user_sgpr_queue_ptr 0
		.amdhsa_user_sgpr_kernarg_segment_ptr 1
		.amdhsa_user_sgpr_dispatch_id 0
		.amdhsa_user_sgpr_kernarg_preload_length 0
		.amdhsa_user_sgpr_kernarg_preload_offset 0
		.amdhsa_user_sgpr_private_segment_size 0
		.amdhsa_uses_dynamic_stack 0
		.amdhsa_enable_private_segment 0
		.amdhsa_system_sgpr_workgroup_id_x 1
		.amdhsa_system_sgpr_workgroup_id_y 0
		.amdhsa_system_sgpr_workgroup_id_z 0
		.amdhsa_system_sgpr_workgroup_info 0
		.amdhsa_system_vgpr_workitem_id 0
		.amdhsa_next_free_vgpr 65
		.amdhsa_next_free_sgpr 24
		.amdhsa_accum_offset 68
		.amdhsa_reserve_vcc 1
		.amdhsa_float_round_mode_32 0
		.amdhsa_float_round_mode_16_64 0
		.amdhsa_float_denorm_mode_32 3
		.amdhsa_float_denorm_mode_16_64 3
		.amdhsa_dx10_clamp 1
		.amdhsa_ieee_mode 1
		.amdhsa_fp16_overflow 0
		.amdhsa_tg_split 0
		.amdhsa_exception_fp_ieee_invalid_op 0
		.amdhsa_exception_fp_denorm_src 0
		.amdhsa_exception_fp_ieee_div_zero 0
		.amdhsa_exception_fp_ieee_overflow 0
		.amdhsa_exception_fp_ieee_underflow 0
		.amdhsa_exception_fp_ieee_inexact 0
		.amdhsa_exception_int_div_zero 0
	.end_amdhsa_kernel
	.text
.Lfunc_end0:
	.size	fft_rtc_back_len90_factors_3_3_10_wgs_63_tpt_9_halfLds_half_ip_CI_sbrr_dirReg, .Lfunc_end0-fft_rtc_back_len90_factors_3_3_10_wgs_63_tpt_9_halfLds_half_ip_CI_sbrr_dirReg
                                        ; -- End function
	.section	.AMDGPU.csdata,"",@progbits
; Kernel info:
; codeLenInByte = 5960
; NumSgprs: 30
; NumVgprs: 65
; NumAgprs: 0
; TotalNumVgprs: 65
; ScratchSize: 0
; MemoryBound: 0
; FloatMode: 240
; IeeeMode: 1
; LDSByteSize: 0 bytes/workgroup (compile time only)
; SGPRBlocks: 3
; VGPRBlocks: 8
; NumSGPRsForWavesPerEU: 30
; NumVGPRsForWavesPerEU: 65
; AccumOffset: 68
; Occupancy: 7
; WaveLimiterHint : 1
; COMPUTE_PGM_RSRC2:SCRATCH_EN: 0
; COMPUTE_PGM_RSRC2:USER_SGPR: 2
; COMPUTE_PGM_RSRC2:TRAP_HANDLER: 0
; COMPUTE_PGM_RSRC2:TGID_X_EN: 1
; COMPUTE_PGM_RSRC2:TGID_Y_EN: 0
; COMPUTE_PGM_RSRC2:TGID_Z_EN: 0
; COMPUTE_PGM_RSRC2:TIDIG_COMP_CNT: 0
; COMPUTE_PGM_RSRC3_GFX90A:ACCUM_OFFSET: 16
; COMPUTE_PGM_RSRC3_GFX90A:TG_SPLIT: 0
	.text
	.p2alignl 6, 3212836864
	.fill 256, 4, 3212836864
	.type	__hip_cuid_7ab1ae22b2545be0,@object ; @__hip_cuid_7ab1ae22b2545be0
	.section	.bss,"aw",@nobits
	.globl	__hip_cuid_7ab1ae22b2545be0
__hip_cuid_7ab1ae22b2545be0:
	.byte	0                               ; 0x0
	.size	__hip_cuid_7ab1ae22b2545be0, 1

	.ident	"AMD clang version 19.0.0git (https://github.com/RadeonOpenCompute/llvm-project roc-6.4.0 25133 c7fe45cf4b819c5991fe208aaa96edf142730f1d)"
	.section	".note.GNU-stack","",@progbits
	.addrsig
	.addrsig_sym __hip_cuid_7ab1ae22b2545be0
	.amdgpu_metadata
---
amdhsa.kernels:
  - .agpr_count:     0
    .args:
      - .actual_access:  read_only
        .address_space:  global
        .offset:         0
        .size:           8
        .value_kind:     global_buffer
      - .offset:         8
        .size:           8
        .value_kind:     by_value
      - .actual_access:  read_only
        .address_space:  global
        .offset:         16
        .size:           8
        .value_kind:     global_buffer
      - .actual_access:  read_only
        .address_space:  global
        .offset:         24
        .size:           8
        .value_kind:     global_buffer
      - .offset:         32
        .size:           8
        .value_kind:     by_value
      - .actual_access:  read_only
        .address_space:  global
        .offset:         40
        .size:           8
        .value_kind:     global_buffer
      - .actual_access:  read_only
        .address_space:  global
        .offset:         48
        .size:           8
        .value_kind:     global_buffer
      - .offset:         56
        .size:           4
        .value_kind:     by_value
      - .actual_access:  read_only
        .address_space:  global
        .offset:         64
        .size:           8
        .value_kind:     global_buffer
      - .actual_access:  read_only
        .address_space:  global
        .offset:         72
        .size:           8
        .value_kind:     global_buffer
      - .address_space:  global
        .offset:         80
        .size:           8
        .value_kind:     global_buffer
    .group_segment_fixed_size: 0
    .kernarg_segment_align: 8
    .kernarg_segment_size: 88
    .language:       OpenCL C
    .language_version:
      - 2
      - 0
    .max_flat_workgroup_size: 63
    .name:           fft_rtc_back_len90_factors_3_3_10_wgs_63_tpt_9_halfLds_half_ip_CI_sbrr_dirReg
    .private_segment_fixed_size: 0
    .sgpr_count:     30
    .sgpr_spill_count: 0
    .symbol:         fft_rtc_back_len90_factors_3_3_10_wgs_63_tpt_9_halfLds_half_ip_CI_sbrr_dirReg.kd
    .uniform_work_group_size: 1
    .uses_dynamic_stack: false
    .vgpr_count:     65
    .vgpr_spill_count: 0
    .wavefront_size: 64
amdhsa.target:   amdgcn-amd-amdhsa--gfx950
amdhsa.version:
  - 1
  - 2
...

	.end_amdgpu_metadata
